;; amdgpu-corpus repo=ROCm/rocFFT kind=compiled arch=gfx1030 opt=O3
	.text
	.amdgcn_target "amdgcn-amd-amdhsa--gfx1030"
	.amdhsa_code_object_version 6
	.protected	fft_rtc_back_len1620_factors_10_3_3_6_3_wgs_162_tpt_162_halfLds_sp_op_CI_CI_sbrr_dirReg ; -- Begin function fft_rtc_back_len1620_factors_10_3_3_6_3_wgs_162_tpt_162_halfLds_sp_op_CI_CI_sbrr_dirReg
	.globl	fft_rtc_back_len1620_factors_10_3_3_6_3_wgs_162_tpt_162_halfLds_sp_op_CI_CI_sbrr_dirReg
	.p2align	8
	.type	fft_rtc_back_len1620_factors_10_3_3_6_3_wgs_162_tpt_162_halfLds_sp_op_CI_CI_sbrr_dirReg,@function
fft_rtc_back_len1620_factors_10_3_3_6_3_wgs_162_tpt_162_halfLds_sp_op_CI_CI_sbrr_dirReg: ; @fft_rtc_back_len1620_factors_10_3_3_6_3_wgs_162_tpt_162_halfLds_sp_op_CI_CI_sbrr_dirReg
; %bb.0:
	s_clause 0x2
	s_load_dwordx4 s[16:19], s[4:5], 0x18
	s_load_dwordx4 s[8:11], s[4:5], 0x0
	;; [unrolled: 1-line block ×3, first 2 shown]
	v_mul_u32_u24_e32 v1, 0x195, v0
	v_mov_b32_e32 v7, 0
	v_mov_b32_e32 v5, 0
	;; [unrolled: 1-line block ×3, first 2 shown]
	s_waitcnt lgkmcnt(0)
	s_load_dwordx2 s[2:3], s[16:17], 0x0
	s_load_dwordx2 s[20:21], s[18:19], 0x0
	v_cmp_lt_u64_e64 s0, s[10:11], 2
	v_add_nc_u32_sdwa v9, s6, v1 dst_sel:DWORD dst_unused:UNUSED_PAD src0_sel:DWORD src1_sel:WORD_1
	v_mov_b32_e32 v10, v7
	s_and_b32 vcc_lo, exec_lo, s0
	s_cbranch_vccnz .LBB0_8
; %bb.1:
	s_load_dwordx2 s[0:1], s[4:5], 0x10
	v_mov_b32_e32 v5, 0
	v_mov_b32_e32 v6, 0
	s_add_u32 s6, s18, 8
	s_addc_u32 s7, s19, 0
	v_mov_b32_e32 v1, v5
	s_add_u32 s22, s16, 8
	v_mov_b32_e32 v2, v6
	s_addc_u32 s23, s17, 0
	s_mov_b64 s[26:27], 1
	s_waitcnt lgkmcnt(0)
	s_add_u32 s24, s0, 8
	s_addc_u32 s25, s1, 0
.LBB0_2:                                ; =>This Inner Loop Header: Depth=1
	s_load_dwordx2 s[28:29], s[24:25], 0x0
                                        ; implicit-def: $vgpr3_vgpr4
	s_mov_b32 s0, exec_lo
	s_waitcnt lgkmcnt(0)
	v_or_b32_e32 v8, s29, v10
	v_cmpx_ne_u64_e32 0, v[7:8]
	s_xor_b32 s1, exec_lo, s0
	s_cbranch_execz .LBB0_4
; %bb.3:                                ;   in Loop: Header=BB0_2 Depth=1
	v_cvt_f32_u32_e32 v3, s28
	v_cvt_f32_u32_e32 v4, s29
	s_sub_u32 s0, 0, s28
	s_subb_u32 s30, 0, s29
	v_fmac_f32_e32 v3, 0x4f800000, v4
	v_rcp_f32_e32 v3, v3
	v_mul_f32_e32 v3, 0x5f7ffffc, v3
	v_mul_f32_e32 v4, 0x2f800000, v3
	v_trunc_f32_e32 v4, v4
	v_fmac_f32_e32 v3, 0xcf800000, v4
	v_cvt_u32_f32_e32 v4, v4
	v_cvt_u32_f32_e32 v3, v3
	v_mul_lo_u32 v8, s0, v4
	v_mul_hi_u32 v11, s0, v3
	v_mul_lo_u32 v12, s30, v3
	v_add_nc_u32_e32 v8, v11, v8
	v_mul_lo_u32 v11, s0, v3
	v_add_nc_u32_e32 v8, v8, v12
	v_mul_hi_u32 v12, v3, v11
	v_mul_lo_u32 v13, v3, v8
	v_mul_hi_u32 v14, v3, v8
	v_mul_hi_u32 v15, v4, v11
	v_mul_lo_u32 v11, v4, v11
	v_mul_hi_u32 v16, v4, v8
	v_mul_lo_u32 v8, v4, v8
	v_add_co_u32 v12, vcc_lo, v12, v13
	v_add_co_ci_u32_e32 v13, vcc_lo, 0, v14, vcc_lo
	v_add_co_u32 v11, vcc_lo, v12, v11
	v_add_co_ci_u32_e32 v11, vcc_lo, v13, v15, vcc_lo
	v_add_co_ci_u32_e32 v12, vcc_lo, 0, v16, vcc_lo
	v_add_co_u32 v8, vcc_lo, v11, v8
	v_add_co_ci_u32_e32 v11, vcc_lo, 0, v12, vcc_lo
	v_add_co_u32 v3, vcc_lo, v3, v8
	v_add_co_ci_u32_e32 v4, vcc_lo, v4, v11, vcc_lo
	v_mul_hi_u32 v8, s0, v3
	v_mul_lo_u32 v12, s30, v3
	v_mul_lo_u32 v11, s0, v4
	v_add_nc_u32_e32 v8, v8, v11
	v_mul_lo_u32 v11, s0, v3
	v_add_nc_u32_e32 v8, v8, v12
	v_mul_hi_u32 v12, v3, v11
	v_mul_lo_u32 v13, v3, v8
	v_mul_hi_u32 v14, v3, v8
	v_mul_hi_u32 v15, v4, v11
	v_mul_lo_u32 v11, v4, v11
	v_mul_hi_u32 v16, v4, v8
	v_mul_lo_u32 v8, v4, v8
	v_add_co_u32 v12, vcc_lo, v12, v13
	v_add_co_ci_u32_e32 v13, vcc_lo, 0, v14, vcc_lo
	v_add_co_u32 v11, vcc_lo, v12, v11
	v_add_co_ci_u32_e32 v11, vcc_lo, v13, v15, vcc_lo
	v_add_co_ci_u32_e32 v12, vcc_lo, 0, v16, vcc_lo
	v_add_co_u32 v8, vcc_lo, v11, v8
	v_add_co_ci_u32_e32 v11, vcc_lo, 0, v12, vcc_lo
	v_add_co_u32 v8, vcc_lo, v3, v8
	v_add_co_ci_u32_e32 v13, vcc_lo, v4, v11, vcc_lo
	v_mul_hi_u32 v15, v9, v8
	v_mad_u64_u32 v[11:12], null, v10, v8, 0
	v_mad_u64_u32 v[3:4], null, v9, v13, 0
	v_mad_u64_u32 v[13:14], null, v10, v13, 0
	v_add_co_u32 v3, vcc_lo, v15, v3
	v_add_co_ci_u32_e32 v4, vcc_lo, 0, v4, vcc_lo
	v_add_co_u32 v3, vcc_lo, v3, v11
	v_add_co_ci_u32_e32 v3, vcc_lo, v4, v12, vcc_lo
	v_add_co_ci_u32_e32 v4, vcc_lo, 0, v14, vcc_lo
	v_add_co_u32 v8, vcc_lo, v3, v13
	v_add_co_ci_u32_e32 v11, vcc_lo, 0, v4, vcc_lo
	v_mul_lo_u32 v12, s29, v8
	v_mad_u64_u32 v[3:4], null, s28, v8, 0
	v_mul_lo_u32 v13, s28, v11
	v_sub_co_u32 v3, vcc_lo, v9, v3
	v_add3_u32 v4, v4, v13, v12
	v_sub_nc_u32_e32 v12, v10, v4
	v_subrev_co_ci_u32_e64 v12, s0, s29, v12, vcc_lo
	v_add_co_u32 v13, s0, v8, 2
	v_add_co_ci_u32_e64 v14, s0, 0, v11, s0
	v_sub_co_u32 v15, s0, v3, s28
	v_sub_co_ci_u32_e32 v4, vcc_lo, v10, v4, vcc_lo
	v_subrev_co_ci_u32_e64 v12, s0, 0, v12, s0
	v_cmp_le_u32_e32 vcc_lo, s28, v15
	v_cmp_eq_u32_e64 s0, s29, v4
	v_cndmask_b32_e64 v15, 0, -1, vcc_lo
	v_cmp_le_u32_e32 vcc_lo, s29, v12
	v_cndmask_b32_e64 v16, 0, -1, vcc_lo
	v_cmp_le_u32_e32 vcc_lo, s28, v3
	;; [unrolled: 2-line block ×3, first 2 shown]
	v_cndmask_b32_e64 v17, 0, -1, vcc_lo
	v_cmp_eq_u32_e32 vcc_lo, s29, v12
	v_cndmask_b32_e64 v3, v17, v3, s0
	v_cndmask_b32_e32 v12, v16, v15, vcc_lo
	v_add_co_u32 v15, vcc_lo, v8, 1
	v_add_co_ci_u32_e32 v16, vcc_lo, 0, v11, vcc_lo
	v_cmp_ne_u32_e32 vcc_lo, 0, v12
	v_cndmask_b32_e32 v4, v16, v14, vcc_lo
	v_cndmask_b32_e32 v12, v15, v13, vcc_lo
	v_cmp_ne_u32_e32 vcc_lo, 0, v3
	v_cndmask_b32_e32 v4, v11, v4, vcc_lo
	v_cndmask_b32_e32 v3, v8, v12, vcc_lo
.LBB0_4:                                ;   in Loop: Header=BB0_2 Depth=1
	s_andn2_saveexec_b32 s0, s1
	s_cbranch_execz .LBB0_6
; %bb.5:                                ;   in Loop: Header=BB0_2 Depth=1
	v_cvt_f32_u32_e32 v3, s28
	s_sub_i32 s1, 0, s28
	v_rcp_iflag_f32_e32 v3, v3
	v_mul_f32_e32 v3, 0x4f7ffffe, v3
	v_cvt_u32_f32_e32 v3, v3
	v_mul_lo_u32 v4, s1, v3
	v_mul_hi_u32 v4, v3, v4
	v_add_nc_u32_e32 v3, v3, v4
	v_mul_hi_u32 v3, v9, v3
	v_mul_lo_u32 v4, v3, s28
	v_add_nc_u32_e32 v8, 1, v3
	v_sub_nc_u32_e32 v4, v9, v4
	v_subrev_nc_u32_e32 v11, s28, v4
	v_cmp_le_u32_e32 vcc_lo, s28, v4
	v_cndmask_b32_e32 v4, v4, v11, vcc_lo
	v_cndmask_b32_e32 v3, v3, v8, vcc_lo
	v_cmp_le_u32_e32 vcc_lo, s28, v4
	v_add_nc_u32_e32 v8, 1, v3
	v_mov_b32_e32 v4, v7
	v_cndmask_b32_e32 v3, v3, v8, vcc_lo
.LBB0_6:                                ;   in Loop: Header=BB0_2 Depth=1
	s_or_b32 exec_lo, exec_lo, s0
	v_mul_lo_u32 v8, v4, s28
	v_mul_lo_u32 v13, v3, s29
	s_load_dwordx2 s[0:1], s[22:23], 0x0
	v_mad_u64_u32 v[11:12], null, v3, s28, 0
	s_load_dwordx2 s[28:29], s[6:7], 0x0
	s_add_u32 s26, s26, 1
	s_addc_u32 s27, s27, 0
	s_add_u32 s6, s6, 8
	s_addc_u32 s7, s7, 0
	s_add_u32 s22, s22, 8
	v_add3_u32 v8, v12, v13, v8
	v_sub_co_u32 v9, vcc_lo, v9, v11
	s_addc_u32 s23, s23, 0
	s_add_u32 s24, s24, 8
	v_sub_co_ci_u32_e32 v8, vcc_lo, v10, v8, vcc_lo
	s_addc_u32 s25, s25, 0
	s_waitcnt lgkmcnt(0)
	v_mul_lo_u32 v10, s0, v8
	v_mul_lo_u32 v11, s1, v9
	v_mad_u64_u32 v[5:6], null, s0, v9, v[5:6]
	v_mul_lo_u32 v8, s28, v8
	v_mul_lo_u32 v12, s29, v9
	v_mad_u64_u32 v[1:2], null, s28, v9, v[1:2]
	v_cmp_ge_u64_e64 s0, s[26:27], s[10:11]
	v_add3_u32 v6, v11, v6, v10
	v_add3_u32 v2, v12, v2, v8
	s_and_b32 vcc_lo, exec_lo, s0
	s_cbranch_vccnz .LBB0_9
; %bb.7:                                ;   in Loop: Header=BB0_2 Depth=1
	v_mov_b32_e32 v10, v4
	v_mov_b32_e32 v9, v3
	s_branch .LBB0_2
.LBB0_8:
	v_mov_b32_e32 v1, v5
	v_mov_b32_e32 v3, v9
	;; [unrolled: 1-line block ×4, first 2 shown]
.LBB0_9:
	s_load_dwordx2 s[4:5], s[4:5], 0x28
	v_mul_hi_u32 v8, 0x1948b10, v0
	s_lshl_b64 s[6:7], s[10:11], 3
                                        ; implicit-def: $vgpr32
                                        ; implicit-def: $vgpr34
                                        ; implicit-def: $vgpr35
                                        ; implicit-def: $vgpr33
	s_waitcnt lgkmcnt(0)
	v_cmp_gt_u64_e64 s0, s[4:5], v[3:4]
	v_cmp_le_u64_e32 vcc_lo, s[4:5], v[3:4]
	s_add_u32 s4, s18, s6
	s_addc_u32 s5, s19, s7
	s_and_saveexec_b32 s1, vcc_lo
	s_xor_b32 s1, exec_lo, s1
; %bb.10:
	v_mul_u32_u24_e32 v5, 0xa2, v8
                                        ; implicit-def: $vgpr8
	v_sub_nc_u32_e32 v32, v0, v5
                                        ; implicit-def: $vgpr0
                                        ; implicit-def: $vgpr5_vgpr6
	v_add_nc_u32_e32 v34, 0xa2, v32
	v_add_nc_u32_e32 v35, 0x144, v32
	;; [unrolled: 1-line block ×3, first 2 shown]
; %bb.11:
	s_or_saveexec_b32 s1, s1
                                        ; implicit-def: $vgpr15
                                        ; implicit-def: $vgpr25
                                        ; implicit-def: $vgpr17
                                        ; implicit-def: $vgpr23
                                        ; implicit-def: $vgpr19
                                        ; implicit-def: $vgpr31
                                        ; implicit-def: $vgpr11
                                        ; implicit-def: $vgpr13
                                        ; implicit-def: $vgpr9
                                        ; implicit-def: $vgpr7
	s_xor_b32 exec_lo, exec_lo, s1
	s_cbranch_execz .LBB0_13
; %bb.12:
	s_add_u32 s6, s16, s6
	s_addc_u32 s7, s17, s7
	v_mul_u32_u24_e32 v7, 0xa2, v8
	s_load_dwordx2 s[6:7], s[6:7], 0x0
	v_lshlrev_b64 v[5:6], 3, v[5:6]
	v_sub_nc_u32_e32 v32, v0, v7
	v_mad_u64_u32 v[7:8], null, s2, v32, 0
	v_add_nc_u32_e32 v34, 0xa2, v32
	v_add_nc_u32_e32 v35, 0x144, v32
	;; [unrolled: 1-line block ×5, first 2 shown]
	v_mad_u64_u32 v[9:10], null, s2, v34, 0
	v_mov_b32_e32 v0, v8
	v_mad_u64_u32 v[11:12], null, s2, v35, 0
	s_waitcnt lgkmcnt(0)
	v_mul_lo_u32 v8, s7, v3
	v_mul_lo_u32 v20, s6, v4
	v_mad_u64_u32 v[13:14], null, s6, v3, 0
	v_mad_u64_u32 v[15:16], null, s2, v33, 0
	;; [unrolled: 1-line block ×3, first 2 shown]
	v_mov_b32_e32 v0, v10
	v_mov_b32_e32 v10, v12
	v_add3_u32 v14, v14, v20, v8
	v_mad_u64_u32 v[18:19], null, s2, v23, 0
	v_mad_u64_u32 v[20:21], null, s3, v34, v[0:1]
	v_lshlrev_b64 v[13:14], 3, v[13:14]
	v_mov_b32_e32 v12, v16
	v_mov_b32_e32 v8, v17
	v_mad_u64_u32 v[16:17], null, s3, v35, v[10:11]
	v_add_nc_u32_e32 v26, 0x3cc, v32
	v_add_co_u32 v0, vcc_lo, s12, v13
	v_mad_u64_u32 v[21:22], null, s3, v33, v[12:13]
	v_add_co_ci_u32_e32 v12, vcc_lo, s13, v14, vcc_lo
	v_mov_b32_e32 v10, v20
	v_lshlrev_b64 v[7:8], 3, v[7:8]
	v_add_co_u32 v30, vcc_lo, v0, v5
	v_add_co_ci_u32_e32 v31, vcc_lo, v12, v6, vcc_lo
	v_lshlrev_b64 v[5:6], 3, v[9:10]
	v_mov_b32_e32 v0, v19
	v_add_co_u32 v7, vcc_lo, v30, v7
	v_mov_b32_e32 v12, v16
	v_mov_b32_e32 v16, v21
	v_add_co_ci_u32_e32 v8, vcc_lo, v31, v8, vcc_lo
	v_add_co_u32 v9, vcc_lo, v30, v5
	v_mad_u64_u32 v[13:14], null, s3, v23, v[0:1]
	v_add_co_ci_u32_e32 v10, vcc_lo, v31, v6, vcc_lo
	v_lshlrev_b64 v[5:6], 3, v[11:12]
	v_lshlrev_b64 v[11:12], 3, v[15:16]
	v_mad_u64_u32 v[14:15], null, s2, v24, 0
	v_add_nc_u32_e32 v27, 0x46e, v32
	v_mad_u64_u32 v[22:23], null, s2, v26, 0
	v_add_co_u32 v16, vcc_lo, v30, v5
	v_add_co_ci_u32_e32 v17, vcc_lo, v31, v6, vcc_lo
	v_mov_b32_e32 v0, v15
	v_mov_b32_e32 v19, v13
	v_add_co_u32 v20, vcc_lo, v30, v11
	v_add_co_ci_u32_e32 v21, vcc_lo, v31, v12, vcc_lo
	v_mad_u64_u32 v[5:6], null, s3, v24, v[0:1]
	v_mad_u64_u32 v[24:25], null, s2, v27, 0
	v_mov_b32_e32 v0, v23
	s_clause 0x3
	global_load_dwordx2 v[6:7], v[7:8], off
	global_load_dwordx2 v[8:9], v[9:10], off
	;; [unrolled: 1-line block ×4, first 2 shown]
	v_lshlrev_b64 v[16:17], 3, v[18:19]
	v_add_nc_u32_e32 v28, 0x5b2, v32
	v_mov_b32_e32 v15, v5
	v_add_nc_u32_e32 v5, 0x510, v32
	v_mad_u64_u32 v[18:19], null, s3, v26, v[0:1]
	v_mov_b32_e32 v0, v25
	v_lshlrev_b64 v[14:15], 3, v[14:15]
	v_mad_u64_u32 v[19:20], null, s2, v5, 0
	v_add_co_u32 v16, vcc_lo, v30, v16
	v_mad_u64_u32 v[25:26], null, s3, v27, v[0:1]
	v_mad_u64_u32 v[26:27], null, s2, v28, 0
	v_mov_b32_e32 v0, v20
	v_mov_b32_e32 v23, v18
	v_add_co_ci_u32_e32 v17, vcc_lo, v31, v17, vcc_lo
	v_add_co_u32 v14, vcc_lo, v30, v14
	v_mad_u64_u32 v[20:21], null, s3, v5, v[0:1]
	v_mov_b32_e32 v0, v27
	v_lshlrev_b64 v[21:22], 3, v[22:23]
	v_lshlrev_b64 v[23:24], 3, v[24:25]
	v_add_co_ci_u32_e32 v15, vcc_lo, v31, v15, vcc_lo
	v_mad_u64_u32 v[27:28], null, s3, v28, v[0:1]
	v_add_co_u32 v21, vcc_lo, v30, v21
	v_add_co_ci_u32_e32 v22, vcc_lo, v31, v22, vcc_lo
	v_lshlrev_b64 v[18:19], 3, v[19:20]
	v_add_co_u32 v28, vcc_lo, v30, v23
	v_add_co_ci_u32_e32 v29, vcc_lo, v31, v24, vcc_lo
	v_lshlrev_b64 v[23:24], 3, v[26:27]
	v_add_co_u32 v25, vcc_lo, v30, v18
	v_add_co_ci_u32_e32 v26, vcc_lo, v31, v19, vcc_lo
	v_add_co_u32 v36, vcc_lo, v30, v23
	v_add_co_ci_u32_e32 v37, vcc_lo, v31, v24, vcc_lo
	s_clause 0x5
	global_load_dwordx2 v[30:31], v[16:17], off
	global_load_dwordx2 v[18:19], v[14:15], off
	;; [unrolled: 1-line block ×6, first 2 shown]
.LBB0_13:
	s_or_b32 exec_lo, exec_lo, s1
	s_waitcnt vmcnt(3)
	v_add_f32_e32 v0, v22, v30
	s_waitcnt vmcnt(1)
	v_sub_f32_e32 v20, v13, v25
	v_add_f32_e32 v28, v24, v12
	v_sub_f32_e32 v29, v30, v12
	v_sub_f32_e32 v37, v22, v24
	v_fma_f32 v0, -0.5, v0, v6
	v_add_f32_e32 v5, v12, v6
	v_sub_f32_e32 v21, v31, v23
	v_fmac_f32_e32 v6, -0.5, v28
	v_add_f32_e32 v28, v37, v29
	v_fmamk_f32 v36, v20, 0xbf737871, v0
	v_fmac_f32_e32 v0, 0x3f737871, v20
	v_add_f32_e32 v29, v10, v8
	v_sub_f32_e32 v26, v12, v30
	v_sub_f32_e32 v27, v24, v22
	v_fmac_f32_e32 v36, 0xbf167918, v21
	v_fmamk_f32 v38, v21, 0x3f737871, v6
	v_fmac_f32_e32 v0, 0x3f167918, v21
	v_fmac_f32_e32 v6, 0xbf737871, v21
	v_add_f32_e32 v21, v18, v29
	v_add_f32_e32 v26, v27, v26
	;; [unrolled: 1-line block ×3, first 2 shown]
	v_fmac_f32_e32 v38, 0xbf167918, v20
	v_sub_f32_e32 v29, v10, v18
	s_waitcnt vmcnt(0)
	v_sub_f32_e32 v37, v14, v16
	v_fmac_f32_e32 v6, 0x3f167918, v20
	v_add_f32_e32 v20, v16, v21
	v_fma_f32 v41, -0.5, v27, v8
	v_sub_f32_e32 v27, v11, v15
	v_add_f32_e32 v29, v37, v29
	v_fmac_f32_e32 v36, 0x3e9e377a, v26
	v_add_f32_e32 v37, v14, v20
	v_add_f32_e32 v20, v17, v19
	v_fmac_f32_e32 v0, 0x3e9e377a, v26
	v_fmac_f32_e32 v38, 0x3e9e377a, v28
	v_fmamk_f32 v42, v27, 0xbf737871, v41
	v_sub_f32_e32 v26, v19, v17
	v_add_f32_e32 v21, v14, v10
	v_fmac_f32_e32 v6, 0x3e9e377a, v28
	v_fmac_f32_e32 v41, 0x3f737871, v27
	v_sub_f32_e32 v28, v16, v14
	v_fma_f32 v43, -0.5, v20, v9
	v_sub_f32_e32 v20, v10, v14
	v_add_f32_e32 v14, v15, v11
	v_fmac_f32_e32 v42, 0xbf167918, v26
	v_fmac_f32_e32 v8, -0.5, v21
	v_fmac_f32_e32 v41, 0x3f167918, v26
	v_sub_f32_e32 v21, v18, v10
	v_sub_f32_e32 v16, v18, v16
	v_fma_f32 v45, -0.5, v14, v9
	v_fmac_f32_e32 v42, 0x3e9e377a, v29
	v_fmac_f32_e32 v41, 0x3e9e377a, v29
	v_add_f32_e32 v21, v28, v21
	v_fmamk_f32 v10, v20, 0x3f737871, v43
	v_sub_f32_e32 v18, v11, v19
	v_sub_f32_e32 v28, v15, v17
	v_fmamk_f32 v14, v16, 0xbf737871, v45
	v_sub_f32_e32 v29, v19, v11
	v_sub_f32_e32 v39, v17, v15
	v_fmac_f32_e32 v45, 0x3f737871, v16
	v_fmac_f32_e32 v43, 0xbf737871, v20
	v_fmamk_f32 v44, v26, 0x3f737871, v8
	v_add_f32_e32 v18, v28, v18
	v_add_f32_e32 v28, v39, v29
	v_fmac_f32_e32 v8, 0xbf737871, v26
	v_fmac_f32_e32 v45, 0xbf167918, v20
	;; [unrolled: 1-line block ×5, first 2 shown]
	v_add_f32_e32 v5, v30, v5
	v_fmac_f32_e32 v44, 0xbf167918, v27
	v_fmac_f32_e32 v8, 0x3f167918, v27
	v_fmac_f32_e32 v45, 0x3e9e377a, v28
	v_fmac_f32_e32 v43, 0x3e9e377a, v18
	v_fmac_f32_e32 v10, 0x3e9e377a, v18
	v_fmac_f32_e32 v14, 0x3e9e377a, v28
	v_add_f32_e32 v5, v22, v5
	v_fmac_f32_e32 v44, 0x3e9e377a, v21
	v_fmac_f32_e32 v8, 0x3e9e377a, v21
	v_mul_f32_e32 v21, 0xbf737871, v45
	v_mul_f32_e32 v26, 0xbf167918, v43
	v_mul_u32_u24_e32 v46, 10, v32
	v_mul_f32_e32 v16, 0xbf167918, v10
	v_mul_f32_e32 v18, 0xbf737871, v14
	v_add_f32_e32 v5, v24, v5
	v_fmamk_f32 v39, v8, 0xbe9e377a, v21
	v_fmamk_f32 v40, v41, 0xbf4f1bbd, v26
	v_lshl_add_u32 v46, v46, 2, 0
	v_fmac_f32_e32 v16, 0x3f4f1bbd, v42
	v_fmac_f32_e32 v18, 0x3e9e377a, v44
	v_add_f32_e32 v20, v37, v5
	v_add_f32_e32 v27, v6, v39
	;; [unrolled: 1-line block ×3, first 2 shown]
	v_sub_f32_e32 v29, v5, v37
	v_sub_f32_e32 v5, v6, v39
	;; [unrolled: 1-line block ×3, first 2 shown]
	v_mad_i32_i24 v0, 0xffffffdc, v32, v46
	v_add_f32_e32 v21, v36, v16
	v_add_f32_e32 v26, v38, v18
	v_sub_f32_e32 v36, v36, v16
	v_sub_f32_e32 v37, v38, v18
	v_add_nc_u32_e32 v47, 0x800, v0
	v_add_nc_u32_e32 v48, 0xd00, v0
	;; [unrolled: 1-line block ×3, first 2 shown]
	s_load_dwordx2 s[4:5], s[4:5], 0x0
	ds_write2_b64 v46, v[20:21], v[26:27] offset1:1
	ds_write2_b64 v46, v[28:29], v[36:37] offset0:2 offset1:3
	ds_write_b64 v46, v[5:6] offset:32
	v_lshl_add_u32 v37, v34, 2, 0
	v_lshl_add_u32 v38, v35, 2, 0
	s_waitcnt lgkmcnt(0)
	s_barrier
	buffer_gl0_inv
	ds_read2_b32 v[26:27], v47 offset0:28 offset1:190
	ds_read2_b32 v[28:29], v48 offset0:32 offset1:248
	;; [unrolled: 1-line block ×3, first 2 shown]
	ds_read_b32 v39, v0
	ds_read_b32 v18, v37
	ds_read_b32 v16, v38
	v_cmp_gt_u32_e32 vcc_lo, 54, v32
	v_lshl_add_u32 v36, v33, 2, 0
                                        ; implicit-def: $vgpr5
                                        ; implicit-def: $vgpr40
	s_and_saveexec_b32 s1, vcc_lo
	s_cbranch_execz .LBB0_15
; %bb.14:
	ds_read_b32 v40, v0 offset:4104
	ds_read_b32 v6, v36
	ds_read_b32 v5, v0 offset:6264
.LBB0_15:
	s_or_b32 exec_lo, exec_lo, s1
	v_add_f32_e32 v50, v13, v7
	v_add_f32_e32 v51, v23, v31
	;; [unrolled: 1-line block ×3, first 2 shown]
	v_sub_f32_e32 v22, v30, v22
	v_sub_f32_e32 v12, v12, v24
	v_add_f32_e32 v50, v31, v50
	v_fma_f32 v51, -0.5, v51, v7
	v_fmac_f32_e32 v7, -0.5, v52
	v_sub_f32_e32 v24, v13, v31
	v_sub_f32_e32 v53, v25, v23
	v_add_f32_e32 v30, v23, v50
	v_sub_f32_e32 v13, v31, v13
	v_fmamk_f32 v52, v22, 0xbf737871, v7
	v_sub_f32_e32 v23, v23, v25
	v_fmac_f32_e32 v7, 0x3f737871, v22
	v_add_f32_e32 v9, v11, v9
	v_fmamk_f32 v50, v12, 0x3f737871, v51
	v_fmac_f32_e32 v52, 0x3f167918, v12
	v_add_f32_e32 v11, v23, v13
	v_fmac_f32_e32 v7, 0xbf167918, v12
	v_add_f32_e32 v9, v19, v9
	;; [unrolled: 2-line block ×3, first 2 shown]
	v_fmac_f32_e32 v50, 0x3f167918, v22
	v_fmac_f32_e32 v52, 0x3e9e377a, v11
	;; [unrolled: 1-line block ×3, first 2 shown]
	v_add_f32_e32 v9, v17, v9
	v_mul_f32_e32 v17, 0x3f167918, v42
	v_mul_f32_e32 v19, 0x3f737871, v44
	;; [unrolled: 1-line block ×3, first 2 shown]
	v_fmac_f32_e32 v51, 0xbf167918, v22
	v_mul_f32_e32 v12, 0x3f4f1bbd, v43
	v_add_f32_e32 v30, v25, v30
	v_fmac_f32_e32 v50, 0x3e9e377a, v24
	v_add_f32_e32 v15, v15, v9
	v_fmac_f32_e32 v17, 0x3f4f1bbd, v10
	v_fmac_f32_e32 v19, 0x3e9e377a, v14
	v_fma_f32 v8, 0x3f737871, v8, -v11
	v_fmac_f32_e32 v51, 0x3e9e377a, v24
	v_fma_f32 v24, 0x3f167918, v41, -v12
	v_add_f32_e32 v9, v15, v30
	v_add_f32_e32 v10, v50, v17
	;; [unrolled: 1-line block ×5, first 2 shown]
	v_sub_f32_e32 v14, v30, v15
	v_sub_f32_e32 v22, v50, v17
	;; [unrolled: 1-line block ×5, first 2 shown]
	s_waitcnt lgkmcnt(0)
	s_barrier
	buffer_gl0_inv
	ds_write2_b64 v46, v[9:10], v[11:12] offset1:1
	ds_write2_b64 v46, v[13:14], v[22:23] offset0:2 offset1:3
	ds_write_b64 v46, v[7:8] offset:32
	s_waitcnt lgkmcnt(0)
	s_barrier
	buffer_gl0_inv
	ds_read2_b32 v[13:14], v47 offset0:28 offset1:190
	ds_read2_b32 v[9:10], v48 offset0:32 offset1:248
	;; [unrolled: 1-line block ×3, first 2 shown]
	ds_read_b32 v19, v0
	ds_read_b32 v17, v37
	;; [unrolled: 1-line block ×3, first 2 shown]
                                        ; implicit-def: $vgpr7
                                        ; implicit-def: $vgpr24
	s_and_saveexec_b32 s1, vcc_lo
	s_cbranch_execz .LBB0_17
; %bb.16:
	ds_read_b32 v24, v0 offset:4104
	ds_read_b32 v8, v36
	ds_read_b32 v7, v0 offset:6264
.LBB0_17:
	s_or_b32 exec_lo, exec_lo, s1
	v_and_b32_e32 v23, 0xff, v32
	v_mov_b32_e32 v22, 0xcccd
	v_mov_b32_e32 v42, 4
	;; [unrolled: 1-line block ×3, first 2 shown]
	v_mul_lo_u16 v25, 0xcd, v23
	v_mul_u32_u24_sdwa v30, v34, v22 dst_sel:DWORD dst_unused:UNUSED_PAD src0_sel:WORD_0 src1_sel:DWORD
	v_mul_u32_u24_sdwa v31, v35, v22 dst_sel:DWORD dst_unused:UNUSED_PAD src0_sel:WORD_0 src1_sel:DWORD
	;; [unrolled: 1-line block ×3, first 2 shown]
	v_lshrrev_b16 v25, 11, v25
	v_lshrrev_b32_e32 v30, 19, v30
	v_lshrrev_b32_e32 v31, 19, v31
	;; [unrolled: 1-line block ×3, first 2 shown]
	v_mul_lo_u16 v41, v25, 10
	v_mul_lo_u16 v43, v30, 10
	;; [unrolled: 1-line block ×3, first 2 shown]
	v_mul_u32_u24_e32 v31, 0x78, v31
	v_mul_u32_u24_e32 v30, 0x78, v30
	v_sub_nc_u16 v41, v32, v41
	v_sub_nc_u16 v43, v34, v43
	;; [unrolled: 1-line block ×3, first 2 shown]
	v_lshlrev_b32_sdwa v45, v42, v41 dst_sel:DWORD dst_unused:UNUSED_PAD src0_sel:DWORD src1_sel:BYTE_0
	v_lshlrev_b32_sdwa v22, v42, v43 dst_sel:DWORD dst_unused:UNUSED_PAD src0_sel:DWORD src1_sel:WORD_0
	v_lshlrev_b32_sdwa v47, v42, v44 dst_sel:DWORD dst_unused:UNUSED_PAD src0_sel:DWORD src1_sel:WORD_0
	;; [unrolled: 1-line block ×3, first 2 shown]
	v_lshlrev_b32_sdwa v41, v51, v41 dst_sel:DWORD dst_unused:UNUSED_PAD src0_sel:DWORD src1_sel:BYTE_0
	s_clause 0x1
	global_load_dwordx4 v[53:56], v45, s[8:9]
	global_load_dwordx4 v[57:60], v22, s[8:9]
	v_mul_lo_u16 v45, v46, 10
	global_load_dwordx4 v[61:64], v47, s[8:9]
	v_lshlrev_b32_sdwa v43, v51, v43 dst_sel:DWORD dst_unused:UNUSED_PAD src0_sel:DWORD src1_sel:WORD_0
	v_add3_u32 v31, 0, v31, v44
	v_sub_nc_u16 v22, v33, v45
	v_lshlrev_b32_sdwa v42, v42, v22 dst_sel:DWORD dst_unused:UNUSED_PAD src0_sel:DWORD src1_sel:WORD_0
	global_load_dwordx4 v[65:68], v42, s[8:9]
	v_mov_b32_e32 v42, 0x78
	s_waitcnt vmcnt(0) lgkmcnt(0)
	s_barrier
	buffer_gl0_inv
	v_mul_u32_u24_sdwa v42, v25, v42 dst_sel:DWORD dst_unused:UNUSED_PAD src0_sel:WORD_0 src1_sel:DWORD
	v_mul_lo_u16 v25, v46, 30
	v_add3_u32 v42, 0, v42, v41
	v_add3_u32 v41, 0, v30, v43
	v_mul_f32_e32 v45, v26, v54
	v_mul_f32_e32 v47, v10, v56
	;; [unrolled: 1-line block ×5, first 2 shown]
	v_fma_f32 v54, v13, v53, -v45
	v_fmac_f32_e32 v47, v29, v55
	v_mul_f32_e32 v48, v11, v60
	v_mul_f32_e32 v30, v9, v62
	;; [unrolled: 1-line block ×3, first 2 shown]
	v_fmac_f32_e32 v46, v26, v53
	v_fma_f32 v50, v10, v55, -v49
	v_mul_f32_e32 v52, v27, v58
	v_mul_f32_e32 v56, v20, v60
	v_fmac_f32_e32 v44, v27, v57
	v_fmac_f32_e32 v48, v20, v59
	v_mul_f32_e32 v58, v28, v62
	v_mul_f32_e32 v29, v24, v66
	;; [unrolled: 1-line block ×6, first 2 shown]
	v_fmac_f32_e32 v29, v40, v65
	v_fmac_f32_e32 v45, v5, v67
	;; [unrolled: 1-line block ×4, first 2 shown]
	v_fma_f32 v24, v24, v65, -v10
	v_fma_f32 v21, v7, v67, -v13
	v_add_f32_e32 v7, v46, v47
	v_add_f32_e32 v28, v29, v45
	v_fma_f32 v53, v14, v57, -v52
	v_fma_f32 v52, v11, v59, -v56
	v_add_f32_e32 v11, v44, v48
	v_fma_f32 v49, v9, v61, -v58
	v_fma_f32 v20, v12, v63, -v60
	v_add_f32_e32 v14, v30, v43
	v_add_f32_e32 v5, v39, v46
	v_sub_f32_e32 v9, v54, v50
	v_add_f32_e32 v27, v6, v29
	v_sub_f32_e32 v40, v24, v21
	v_fmac_f32_e32 v39, -0.5, v7
	v_fmac_f32_e32 v6, -0.5, v28
	v_add_f32_e32 v10, v18, v44
	v_sub_f32_e32 v12, v53, v52
	v_fmac_f32_e32 v18, -0.5, v11
	v_add_f32_e32 v13, v16, v30
	v_sub_f32_e32 v26, v49, v20
	v_fmac_f32_e32 v16, -0.5, v14
	v_add_f32_e32 v55, v5, v47
	v_add_f32_e32 v5, v27, v45
	v_fmamk_f32 v11, v9, 0xbf5db3d7, v39
	v_fmamk_f32 v27, v40, 0xbf5db3d7, v6
	v_fmac_f32_e32 v6, 0x3f5db3d7, v40
	v_fmac_f32_e32 v39, 0x3f5db3d7, v9
	v_add_f32_e32 v7, v10, v48
	v_fmamk_f32 v9, v12, 0xbf5db3d7, v18
	v_fmac_f32_e32 v18, 0x3f5db3d7, v12
	v_add_f32_e32 v10, v13, v43
	v_fmamk_f32 v12, v26, 0xbf5db3d7, v16
	v_fmac_f32_e32 v16, 0x3f5db3d7, v26
	ds_write2_b32 v42, v55, v11 offset1:10
	ds_write_b32 v42, v39 offset:80
	ds_write2_b32 v41, v7, v9 offset1:10
	ds_write_b32 v41, v18 offset:80
	;; [unrolled: 2-line block ×3, first 2 shown]
	s_and_saveexec_b32 s1, vcc_lo
	s_cbranch_execz .LBB0_19
; %bb.18:
	v_lshlrev_b32_sdwa v7, v51, v22 dst_sel:DWORD dst_unused:UNUSED_PAD src0_sel:DWORD src1_sel:WORD_0
	v_lshlrev_b32_sdwa v9, v51, v25 dst_sel:DWORD dst_unused:UNUSED_PAD src0_sel:DWORD src1_sel:WORD_0
	v_add3_u32 v7, 0, v7, v9
	ds_write2_b32 v7, v5, v27 offset1:10
	ds_write_b32 v7, v6 offset:80
.LBB0_19:
	s_or_b32 exec_lo, exec_lo, s1
	v_add_nc_u32_e32 v7, 0x800, v0
	v_add_nc_u32_e32 v9, 0xd00, v0
	;; [unrolled: 1-line block ×3, first 2 shown]
	s_waitcnt lgkmcnt(0)
	s_barrier
	buffer_gl0_inv
	ds_read2_b32 v[13:14], v7 offset0:28 offset1:190
	ds_read2_b32 v[11:12], v9 offset0:32 offset1:248
	;; [unrolled: 1-line block ×3, first 2 shown]
	ds_read_b32 v28, v0
	ds_read_b32 v26, v37
	;; [unrolled: 1-line block ×3, first 2 shown]
	s_and_saveexec_b32 s1, vcc_lo
	s_cbranch_execz .LBB0_21
; %bb.20:
	ds_read_b32 v27, v0 offset:4104
	ds_read_b32 v5, v36
	ds_read_b32 v6, v0 offset:6264
.LBB0_21:
	s_or_b32 exec_lo, exec_lo, s1
	v_add_f32_e32 v16, v54, v50
	v_add_f32_e32 v40, v53, v52
	;; [unrolled: 1-line block ×3, first 2 shown]
	v_sub_f32_e32 v39, v46, v47
	v_sub_f32_e32 v44, v44, v48
	v_fmac_f32_e32 v19, -0.5, v16
	v_add_f32_e32 v16, v17, v53
	v_fmac_f32_e32 v17, -0.5, v40
	v_add_f32_e32 v47, v15, v49
	v_sub_f32_e32 v30, v30, v43
	v_fmamk_f32 v40, v39, 0x3f5db3d7, v19
	v_fmac_f32_e32 v19, 0xbf5db3d7, v39
	v_add_f32_e32 v39, v49, v20
	v_fmamk_f32 v46, v44, 0x3f5db3d7, v17
	v_fmac_f32_e32 v17, 0xbf5db3d7, v44
	v_add_f32_e32 v44, v24, v21
	v_add_f32_e32 v24, v8, v24
	v_fmac_f32_e32 v15, -0.5, v39
	v_sub_f32_e32 v29, v29, v45
	v_add_f32_e32 v18, v18, v50
	v_fmac_f32_e32 v8, -0.5, v44
	v_add_f32_e32 v21, v24, v21
	v_fmamk_f32 v39, v30, 0x3f5db3d7, v15
	v_fmac_f32_e32 v15, 0xbf5db3d7, v30
	v_add_f32_e32 v16, v16, v52
	v_fmamk_f32 v30, v29, 0x3f5db3d7, v8
	v_fmac_f32_e32 v8, 0xbf5db3d7, v29
	v_add_f32_e32 v20, v47, v20
	s_waitcnt lgkmcnt(0)
	s_barrier
	buffer_gl0_inv
	ds_write2_b32 v42, v18, v40 offset1:10
	ds_write_b32 v42, v19 offset:80
	ds_write2_b32 v41, v16, v46 offset1:10
	ds_write_b32 v41, v17 offset:80
	;; [unrolled: 2-line block ×3, first 2 shown]
	s_and_saveexec_b32 s1, vcc_lo
	s_cbranch_execz .LBB0_23
; %bb.22:
	v_mov_b32_e32 v15, 2
	v_lshlrev_b32_sdwa v16, v15, v22 dst_sel:DWORD dst_unused:UNUSED_PAD src0_sel:DWORD src1_sel:WORD_0
	v_lshlrev_b32_sdwa v15, v15, v25 dst_sel:DWORD dst_unused:UNUSED_PAD src0_sel:DWORD src1_sel:WORD_0
	v_add3_u32 v15, 0, v16, v15
	ds_write2_b32 v15, v21, v30 offset1:10
	ds_write_b32 v15, v8 offset:80
.LBB0_23:
	s_or_b32 exec_lo, exec_lo, s1
	v_add_nc_u32_e32 v15, 0x800, v0
	v_add_nc_u32_e32 v16, 0xd00, v0
	;; [unrolled: 1-line block ×3, first 2 shown]
	s_waitcnt lgkmcnt(0)
	s_barrier
	buffer_gl0_inv
	ds_read2_b32 v[19:20], v15 offset0:28 offset1:190
	ds_read2_b32 v[17:18], v16 offset0:32 offset1:248
	;; [unrolled: 1-line block ×3, first 2 shown]
	ds_read_b32 v25, v0
	ds_read_b32 v24, v37
	;; [unrolled: 1-line block ×3, first 2 shown]
	s_and_saveexec_b32 s1, vcc_lo
	s_cbranch_execz .LBB0_25
; %bb.24:
	ds_read_b32 v30, v0 offset:4104
	ds_read_b32 v21, v36
	ds_read_b32 v8, v0 offset:6264
.LBB0_25:
	s_or_b32 exec_lo, exec_lo, s1
	v_mul_lo_u16 v23, 0x89, v23
	v_mov_b32_e32 v29, 0x8889
	v_mov_b32_e32 v40, 4
	;; [unrolled: 1-line block ×3, first 2 shown]
	v_lshrrev_b16 v23, 12, v23
	v_mul_u32_u24_sdwa v31, v34, v29 dst_sel:DWORD dst_unused:UNUSED_PAD src0_sel:WORD_0 src1_sel:DWORD
	v_mul_u32_u24_sdwa v41, v35, v29 dst_sel:DWORD dst_unused:UNUSED_PAD src0_sel:WORD_0 src1_sel:DWORD
	;; [unrolled: 1-line block ×3, first 2 shown]
	v_mul_lo_u16 v39, v23, 30
	v_lshrrev_b32_e32 v31, 20, v31
	v_lshrrev_b32_e32 v41, 20, v41
	;; [unrolled: 1-line block ×3, first 2 shown]
	v_sub_nc_u16 v39, v32, v39
	v_mul_lo_u16 v42, v31, 30
	v_mul_lo_u16 v29, v41, 30
	;; [unrolled: 1-line block ×3, first 2 shown]
	v_mul_u32_u24_e32 v41, 0x168, v41
	v_lshlrev_b32_sdwa v43, v40, v39 dst_sel:DWORD dst_unused:UNUSED_PAD src0_sel:DWORD src1_sel:BYTE_0
	v_sub_nc_u16 v47, v34, v42
	v_sub_nc_u16 v49, v35, v29
	;; [unrolled: 1-line block ×3, first 2 shown]
	v_lshlrev_b32_sdwa v39, v52, v39 dst_sel:DWORD dst_unused:UNUSED_PAD src0_sel:DWORD src1_sel:BYTE_0
	global_load_dwordx4 v[42:45], v43, s[8:9] offset:160
	v_lshlrev_b32_sdwa v50, v40, v47 dst_sel:DWORD dst_unused:UNUSED_PAD src0_sel:DWORD src1_sel:WORD_0
	v_lshlrev_b32_sdwa v48, v40, v49 dst_sel:DWORD dst_unused:UNUSED_PAD src0_sel:DWORD src1_sel:WORD_0
	;; [unrolled: 1-line block ×3, first 2 shown]
	s_clause 0x2
	global_load_dwordx4 v[53:56], v50, s[8:9] offset:160
	global_load_dwordx4 v[57:60], v48, s[8:9] offset:160
	;; [unrolled: 1-line block ×3, first 2 shown]
	v_mov_b32_e32 v40, 0x168
	s_waitcnt vmcnt(0) lgkmcnt(0)
	s_barrier
	buffer_gl0_inv
	v_mul_u32_u24_sdwa v23, v23, v40 dst_sel:DWORD dst_unused:UNUSED_PAD src0_sel:WORD_0 src1_sel:DWORD
	v_mul_u32_u24_e32 v40, 0x168, v31
	v_mul_lo_u16 v31, 0x5a, v46
	v_add3_u32 v39, 0, v23, v39
	v_lshlrev_b32_sdwa v23, v52, v47 dst_sel:DWORD dst_unused:UNUSED_PAD src0_sel:DWORD src1_sel:WORD_0
	v_lshlrev_b32_sdwa v47, v52, v49 dst_sel:DWORD dst_unused:UNUSED_PAD src0_sel:DWORD src1_sel:WORD_0
	v_add3_u32 v40, 0, v40, v23
	v_add3_u32 v41, 0, v41, v47
	v_mul_f32_e32 v46, v19, v43
	v_mul_f32_e32 v23, v13, v43
	v_mul_f32_e32 v48, v18, v45
	v_mul_f32_e32 v43, v12, v45
	v_fmac_f32_e32 v46, v13, v42
	v_fma_f32 v50, v19, v42, -v23
	v_fmac_f32_e32 v48, v12, v44
	v_fma_f32 v44, v18, v44, -v43
	v_mul_f32_e32 v45, v20, v54
	v_mul_f32_e32 v47, v15, v56
	;; [unrolled: 1-line block ×12, first 2 shown]
	v_fmac_f32_e32 v45, v14, v53
	v_fmac_f32_e32 v47, v9, v55
	;; [unrolled: 1-line block ×5, first 2 shown]
	v_add_f32_e32 v10, v46, v48
	v_fmac_f32_e32 v43, v6, v63
	v_fma_f32 v51, v20, v53, -v12
	v_fma_f32 v49, v15, v55, -v18
	;; [unrolled: 1-line block ×5, first 2 shown]
	v_add_f32_e32 v9, v28, v46
	v_fma_f32 v15, v8, v63, -v58
	v_fmac_f32_e32 v28, -0.5, v10
	v_add_f32_e32 v10, v45, v47
	v_add_f32_e32 v16, v13, v42
	;; [unrolled: 1-line block ×3, first 2 shown]
	v_sub_f32_e32 v6, v50, v44
	v_add_f32_e32 v8, v9, v48
	v_add_f32_e32 v9, v26, v45
	v_sub_f32_e32 v11, v51, v49
	v_add_f32_e32 v12, v7, v13
	v_sub_f32_e32 v17, v20, v14
	;; [unrolled: 2-line block ×3, first 2 shown]
	v_fmac_f32_e32 v26, -0.5, v10
	v_fmac_f32_e32 v7, -0.5, v16
	;; [unrolled: 1-line block ×3, first 2 shown]
	v_fmamk_f32 v53, v6, 0xbf5db3d7, v28
	v_fmac_f32_e32 v28, 0x3f5db3d7, v6
	v_add_f32_e32 v54, v9, v47
	v_add_f32_e32 v6, v12, v42
	;; [unrolled: 1-line block ×3, first 2 shown]
	v_fmamk_f32 v12, v11, 0xbf5db3d7, v26
	v_fmac_f32_e32 v26, 0x3f5db3d7, v11
	v_fmamk_f32 v11, v17, 0xbf5db3d7, v7
	v_fmac_f32_e32 v7, 0x3f5db3d7, v17
	;; [unrolled: 2-line block ×3, first 2 shown]
	ds_write2_b32 v39, v8, v53 offset1:30
	ds_write_b32 v39, v28 offset:240
	ds_write2_b32 v40, v54, v12 offset1:30
	ds_write_b32 v40, v26 offset:240
	;; [unrolled: 2-line block ×3, first 2 shown]
	s_and_saveexec_b32 s1, vcc_lo
	s_cbranch_execz .LBB0_27
; %bb.26:
	v_lshlrev_b32_sdwa v8, v52, v29 dst_sel:DWORD dst_unused:UNUSED_PAD src0_sel:DWORD src1_sel:WORD_0
	v_lshlrev_b32_sdwa v12, v52, v31 dst_sel:DWORD dst_unused:UNUSED_PAD src0_sel:DWORD src1_sel:WORD_0
	v_add3_u32 v8, 0, v8, v12
	ds_write2_b32 v8, v9, v10 offset1:30
	ds_write_b32 v8, v5 offset:240
.LBB0_27:
	s_or_b32 exec_lo, exec_lo, s1
	s_waitcnt lgkmcnt(0)
	s_barrier
	buffer_gl0_inv
	ds_read_b32 v8, v0
	ds_read_b32 v19, v0 offset:1080
	ds_read_b32 v18, v0 offset:2160
	;; [unrolled: 1-line block ×5, first 2 shown]
	v_cmp_gt_u32_e64 s1, 0x6c, v32
	s_and_saveexec_b32 s2, s1
	s_cbranch_execz .LBB0_29
; %bb.28:
	ds_read_b32 v11, v0 offset:1728
	ds_read_b32 v7, v0 offset:2808
	;; [unrolled: 1-line block ×4, first 2 shown]
	ds_read_b32 v6, v37
	ds_read_b32 v5, v0 offset:6048
.LBB0_29:
	s_or_b32 exec_lo, exec_lo, s2
	v_add_f32_e32 v26, v50, v44
	v_sub_f32_e32 v30, v46, v48
	v_add_f32_e32 v46, v51, v49
	v_add_f32_e32 v28, v25, v50
	v_sub_f32_e32 v45, v45, v47
	v_fmac_f32_e32 v25, -0.5, v26
	v_add_f32_e32 v26, v24, v51
	v_fmac_f32_e32 v24, -0.5, v46
	v_add_f32_e32 v28, v28, v44
	v_sub_f32_e32 v42, v13, v42
	v_fmamk_f32 v44, v30, 0x3f5db3d7, v25
	v_fmac_f32_e32 v25, 0xbf5db3d7, v30
	v_add_f32_e32 v30, v26, v49
	v_add_f32_e32 v26, v20, v14
	v_fmamk_f32 v46, v45, 0x3f5db3d7, v24
	v_fmac_f32_e32 v24, 0xbf5db3d7, v45
	v_add_f32_e32 v45, v27, v15
	v_add_f32_e32 v20, v22, v20
	v_fmac_f32_e32 v22, -0.5, v26
	v_add_f32_e32 v27, v21, v27
	v_sub_f32_e32 v43, v23, v43
	v_fmac_f32_e32 v21, -0.5, v45
	v_add_f32_e32 v13, v20, v14
	v_fmamk_f32 v26, v42, 0x3f5db3d7, v22
	v_fmac_f32_e32 v22, 0xbf5db3d7, v42
	v_add_f32_e32 v23, v27, v15
	v_fmamk_f32 v20, v43, 0x3f5db3d7, v21
	v_fmac_f32_e32 v21, 0xbf5db3d7, v43
	s_waitcnt lgkmcnt(0)
	s_barrier
	buffer_gl0_inv
	ds_write2_b32 v39, v28, v44 offset1:30
	ds_write_b32 v39, v25 offset:240
	ds_write2_b32 v40, v30, v46 offset1:30
	ds_write_b32 v40, v24 offset:240
	;; [unrolled: 2-line block ×3, first 2 shown]
	s_and_saveexec_b32 s2, vcc_lo
	s_cbranch_execz .LBB0_31
; %bb.30:
	v_mov_b32_e32 v14, 2
	v_lshlrev_b32_sdwa v15, v14, v29 dst_sel:DWORD dst_unused:UNUSED_PAD src0_sel:DWORD src1_sel:WORD_0
	v_lshlrev_b32_sdwa v14, v14, v31 dst_sel:DWORD dst_unused:UNUSED_PAD src0_sel:DWORD src1_sel:WORD_0
	v_add3_u32 v14, 0, v15, v14
	ds_write2_b32 v14, v23, v20 offset1:30
	ds_write_b32 v14, v21 offset:240
.LBB0_31:
	s_or_b32 exec_lo, exec_lo, s2
	s_waitcnt lgkmcnt(0)
	s_barrier
	buffer_gl0_inv
	ds_read_b32 v14, v0
	ds_read_b32 v30, v0 offset:1080
	ds_read_b32 v29, v0 offset:2160
	;; [unrolled: 1-line block ×5, first 2 shown]
	s_and_saveexec_b32 s2, s1
	s_cbranch_execz .LBB0_33
; %bb.32:
	ds_read_b32 v26, v0 offset:1728
	ds_read_b32 v22, v0 offset:2808
	;; [unrolled: 1-line block ×4, first 2 shown]
	ds_read_b32 v13, v37
	ds_read_b32 v21, v0 offset:6048
.LBB0_33:
	s_or_b32 exec_lo, exec_lo, s2
	v_add_nc_u32_e32 v15, 0xffffffa6, v32
	v_cmp_gt_u32_e64 s2, 0x5a, v32
	v_mov_b32_e32 v40, 0
	v_mov_b32_e32 v31, 5
	v_cndmask_b32_e64 v28, v15, v32, s2
	v_mov_b32_e32 v15, 0x2d83
	v_mul_i32_i24_e32 v39, 5, v28
	v_mul_u32_u24_sdwa v15, v34, v15 dst_sel:DWORD dst_unused:UNUSED_PAD src0_sel:WORD_0 src1_sel:DWORD
	v_lshlrev_b32_e32 v28, 2, v28
	v_lshlrev_b64 v[39:40], 3, v[39:40]
	v_lshrrev_b32_e32 v61, 20, v15
	v_mul_lo_u16 v15, 0x5a, v61
	v_add_co_u32 v39, s2, s8, v39
	v_add_co_ci_u32_e64 v40, s2, s9, v40, s2
	v_sub_nc_u16 v15, v34, v15
	v_cmp_lt_u32_e64 s2, 0x59, v32
	s_clause 0x1
	global_load_dwordx4 v[41:44], v[39:40], off offset:640
	global_load_dwordx4 v[45:48], v[39:40], off offset:656
	v_mul_u32_u24_sdwa v31, v15, v31 dst_sel:DWORD dst_unused:UNUSED_PAD src0_sel:WORD_0 src1_sel:DWORD
	global_load_dwordx2 v[57:58], v[39:40], off offset:672
	v_lshlrev_b32_e32 v31, 3, v31
	s_clause 0x2
	global_load_dwordx4 v[49:52], v31, s[8:9] offset:640
	global_load_dwordx4 v[53:56], v31, s[8:9] offset:656
	global_load_dwordx2 v[59:60], v31, s[8:9] offset:672
	v_cndmask_b32_e64 v31, 0, 0x870, s2
	s_waitcnt vmcnt(0) lgkmcnt(0)
	s_barrier
	buffer_gl0_inv
	v_add3_u32 v28, 0, v31, v28
	v_add_nc_u32_e32 v62, 0x200, v28
	v_add_nc_u32_e32 v63, 0x400, v28
	v_mul_f32_e32 v31, v30, v42
	v_mul_f32_e32 v42, v19, v42
	v_mul_f32_e32 v39, v29, v44
	v_mul_f32_e32 v44, v18, v44
	v_mul_f32_e32 v64, v27, v46
	v_mul_f32_e32 v46, v17, v46
	v_mul_f32_e32 v40, v25, v48
	v_mul_f32_e32 v48, v16, v48
	v_mul_f32_e32 v65, v24, v58
	v_mul_f32_e32 v58, v12, v58
	v_fmac_f32_e32 v31, v19, v41
	v_fma_f32 v30, v30, v41, -v42
	v_fmac_f32_e32 v39, v18, v43
	v_fma_f32 v42, v29, v43, -v44
	;; [unrolled: 2-line block ×4, first 2 shown]
	v_mul_f32_e32 v16, v26, v50
	v_mul_f32_e32 v17, v22, v52
	;; [unrolled: 1-line block ×6, first 2 shown]
	v_fmac_f32_e32 v65, v12, v57
	v_fma_f32 v24, v24, v57, -v58
	v_mul_f32_e32 v12, v11, v50
	v_mul_f32_e32 v25, v7, v52
	;; [unrolled: 1-line block ×4, first 2 shown]
	v_add_f32_e32 v48, v8, v39
	v_add_f32_e32 v50, v39, v40
	;; [unrolled: 1-line block ×3, first 2 shown]
	v_fmac_f32_e32 v16, v11, v49
	v_fmac_f32_e32 v17, v7, v51
	;; [unrolled: 1-line block ×3, first 2 shown]
	v_fma_f32 v23, v23, v53, -v43
	v_fma_f32 v43, v20, v55, -v45
	;; [unrolled: 1-line block ×3, first 2 shown]
	v_sub_f32_e32 v52, v42, v19
	v_add_f32_e32 v58, v41, v24
	v_fma_f32 v29, v26, v49, -v12
	v_fma_f32 v44, v22, v51, -v25
	v_fmac_f32_e32 v18, v10, v55
	v_fmac_f32_e32 v46, v5, v59
	v_add_f32_e32 v5, v48, v40
	v_fmac_f32_e32 v8, -0.5, v50
	v_add_f32_e32 v7, v54, v65
	v_add_f32_e32 v9, v6, v17
	;; [unrolled: 1-line block ×5, first 2 shown]
	v_sub_f32_e32 v60, v64, v65
	v_fma_f32 v49, -0.5, v58, v30
	v_add_f32_e32 v10, v17, v18
	v_add_f32_e32 v21, v27, v46
	v_sub_f32_e32 v26, v27, v46
	v_fmamk_f32 v27, v52, 0xbf5db3d7, v8
	v_fmac_f32_e32 v8, 0x3f5db3d7, v52
	v_add_f32_e32 v52, v5, v7
	v_sub_f32_e32 v53, v5, v7
	v_add_f32_e32 v7, v9, v18
	v_add_f32_e32 v9, v12, v46
	v_fma_f32 v46, -0.5, v25, v29
	v_sub_f32_e32 v57, v41, v24
	v_fmac_f32_e32 v31, -0.5, v56
	v_sub_f32_e32 v11, v44, v43
	v_sub_f32_e32 v22, v23, v20
	v_fmamk_f32 v51, v60, 0x3f5db3d7, v49
	v_fmac_f32_e32 v6, -0.5, v10
	v_fmac_f32_e32 v16, -0.5, v21
	v_fmamk_f32 v48, v26, 0x3f5db3d7, v46
	v_fmac_f32_e32 v46, 0xbf5db3d7, v26
	v_fmac_f32_e32 v49, 0xbf5db3d7, v60
	v_fmamk_f32 v50, v57, 0xbf5db3d7, v31
	v_mul_f32_e32 v21, 0xbf5db3d7, v51
	v_fmamk_f32 v10, v11, 0xbf5db3d7, v6
	v_fmac_f32_e32 v6, 0x3f5db3d7, v11
	v_fmamk_f32 v47, v22, 0xbf5db3d7, v16
	v_fmac_f32_e32 v16, 0x3f5db3d7, v22
	v_mul_f32_e32 v11, 0xbf5db3d7, v48
	v_mul_f32_e32 v12, 0xbf5db3d7, v46
	v_fmac_f32_e32 v31, 0x3f5db3d7, v57
	v_mul_f32_e32 v25, 0xbf5db3d7, v49
	v_fmac_f32_e32 v21, 0.5, v50
	v_fmac_f32_e32 v11, 0.5, v47
	v_fmac_f32_e32 v12, -0.5, v16
	v_sub_f32_e32 v5, v7, v9
	v_fmac_f32_e32 v25, -0.5, v31
	v_add_f32_e32 v26, v27, v21
	v_sub_f32_e32 v27, v27, v21
	v_sub_f32_e32 v21, v10, v11
	;; [unrolled: 1-line block ×3, first 2 shown]
	v_mul_lo_u16 v45, 0x21c, v61
	v_add_f32_e32 v54, v8, v25
	v_sub_f32_e32 v8, v8, v25
	ds_write2_b32 v28, v52, v26 offset1:90
	ds_write2_b32 v62, v54, v53 offset0:52 offset1:142
	ds_write2_b32 v63, v27, v8 offset0:104 offset1:194
	s_and_saveexec_b32 s2, s1
	s_cbranch_execz .LBB0_35
; %bb.34:
	v_mov_b32_e32 v8, 2
	v_add_f32_e32 v10, v10, v11
	v_add_f32_e32 v7, v7, v9
	;; [unrolled: 1-line block ×3, first 2 shown]
	v_lshlrev_b32_sdwa v25, v8, v15 dst_sel:DWORD dst_unused:UNUSED_PAD src0_sel:DWORD src1_sel:WORD_0
	v_lshlrev_b32_sdwa v8, v8, v45 dst_sel:DWORD dst_unused:UNUSED_PAD src0_sel:DWORD src1_sel:WORD_0
	v_add3_u32 v8, 0, v25, v8
	v_add_nc_u32_e32 v9, 0x200, v8
	v_add_nc_u32_e32 v11, 0x400, v8
	ds_write2_b32 v8, v7, v10 offset1:90
	ds_write2_b32 v9, v6, v5 offset0:52 offset1:142
	ds_write2_b32 v11, v21, v22 offset0:104 offset1:194
.LBB0_35:
	s_or_b32 exec_lo, exec_lo, s2
	v_add_nc_u32_e32 v6, 0x800, v0
	v_add_nc_u32_e32 v7, 0xd00, v0
	;; [unrolled: 1-line block ×3, first 2 shown]
	s_waitcnt lgkmcnt(0)
	s_barrier
	buffer_gl0_inv
	ds_read2_b32 v[9:10], v6 offset0:28 offset1:190
	ds_read2_b32 v[7:8], v7 offset0:32 offset1:248
	;; [unrolled: 1-line block ×3, first 2 shown]
	ds_read_b32 v25, v0
	ds_read_b32 v26, v37
	;; [unrolled: 1-line block ×3, first 2 shown]
	s_and_saveexec_b32 s2, vcc_lo
	s_cbranch_execz .LBB0_37
; %bb.36:
	ds_read_b32 v21, v0 offset:4104
	ds_read_b32 v5, v36
	ds_read_b32 v22, v0 offset:6264
.LBB0_37:
	s_or_b32 exec_lo, exec_lo, s2
	v_add_f32_e32 v6, v42, v19
	v_add_f32_e32 v42, v14, v42
	;; [unrolled: 1-line block ×3, first 2 shown]
	v_sub_f32_e32 v39, v39, v40
	v_mul_f32_e32 v40, 0.5, v51
	v_fmac_f32_e32 v14, -0.5, v6
	v_mul_f32_e32 v6, -0.5, v49
	v_add_f32_e32 v19, v42, v19
	v_add_f32_e32 v24, v30, v24
	;; [unrolled: 1-line block ×3, first 2 shown]
	v_fmamk_f32 v30, v39, 0x3f5db3d7, v14
	v_fmac_f32_e32 v6, 0x3f5db3d7, v31
	v_add_f32_e32 v31, v44, v43
	v_fmac_f32_e32 v14, 0xbf5db3d7, v39
	v_add_f32_e32 v39, v19, v24
	v_sub_f32_e32 v49, v19, v24
	v_sub_f32_e32 v24, v17, v18
	v_fmac_f32_e32 v13, -0.5, v31
	v_add_f32_e32 v23, v29, v23
	v_mul_f32_e32 v18, 0.5, v48
	v_mul_f32_e32 v19, -0.5, v46
	v_fmac_f32_e32 v40, 0x3f5db3d7, v50
	v_add_f32_e32 v17, v42, v43
	v_fmamk_f32 v29, v24, 0x3f5db3d7, v13
	v_fmac_f32_e32 v13, 0xbf5db3d7, v24
	v_add_f32_e32 v20, v23, v20
	v_fmac_f32_e32 v18, 0x3f5db3d7, v47
	v_fmac_f32_e32 v19, 0x3f5db3d7, v16
	v_add_f32_e32 v41, v30, v40
	v_add_f32_e32 v44, v14, v6
	v_sub_f32_e32 v14, v14, v6
	v_sub_f32_e32 v6, v17, v20
	;; [unrolled: 1-line block ×5, first 2 shown]
	v_add_nc_u32_e32 v30, 0x200, v28
	v_add_nc_u32_e32 v31, 0x400, v28
	s_waitcnt lgkmcnt(0)
	s_barrier
	buffer_gl0_inv
	ds_write2_b32 v28, v39, v41 offset1:90
	ds_write2_b32 v30, v44, v49 offset0:52 offset1:142
	ds_write2_b32 v31, v16, v14 offset0:104 offset1:194
	s_and_saveexec_b32 s2, s1
	s_cbranch_execz .LBB0_39
; %bb.38:
	v_mov_b32_e32 v14, 2
	v_add_f32_e32 v16, v29, v18
	v_add_f32_e32 v13, v13, v19
	v_lshlrev_b32_sdwa v15, v14, v15 dst_sel:DWORD dst_unused:UNUSED_PAD src0_sel:DWORD src1_sel:WORD_0
	v_lshlrev_b32_sdwa v14, v14, v45 dst_sel:DWORD dst_unused:UNUSED_PAD src0_sel:DWORD src1_sel:WORD_0
	v_add3_u32 v14, 0, v15, v14
	v_add_f32_e32 v15, v17, v20
	v_add_nc_u32_e32 v17, 0x200, v14
	v_add_nc_u32_e32 v18, 0x400, v14
	ds_write2_b32 v14, v15, v16 offset1:90
	ds_write2_b32 v17, v13, v6 offset0:52 offset1:142
	ds_write2_b32 v18, v23, v24 offset0:104 offset1:194
.LBB0_39:
	s_or_b32 exec_lo, exec_lo, s2
	v_add_nc_u32_e32 v13, 0x800, v0
	v_add_nc_u32_e32 v14, 0xd00, v0
	;; [unrolled: 1-line block ×3, first 2 shown]
	s_waitcnt lgkmcnt(0)
	s_barrier
	buffer_gl0_inv
	ds_read2_b32 v[17:18], v13 offset0:28 offset1:190
	ds_read2_b32 v[15:16], v14 offset0:32 offset1:248
	;; [unrolled: 1-line block ×3, first 2 shown]
	ds_read_b32 v28, v0
	ds_read_b32 v29, v37
	;; [unrolled: 1-line block ×3, first 2 shown]
	s_and_saveexec_b32 s1, vcc_lo
	s_cbranch_execz .LBB0_41
; %bb.40:
	ds_read_b32 v23, v0 offset:4104
	ds_read_b32 v6, v36
	ds_read_b32 v24, v0 offset:6264
.LBB0_41:
	s_or_b32 exec_lo, exec_lo, s1
	s_and_saveexec_b32 s1, s0
	s_cbranch_execz .LBB0_44
; %bb.42:
	v_lshlrev_b32_e32 v13, 1, v35
	v_mov_b32_e32 v14, 0
	v_add_nc_u32_e32 v46, 0xa2, v32
	v_add_nc_u32_e32 v47, 0x144, v32
	v_lshlrev_b64 v[1:2], 3, v[1:2]
	v_lshlrev_b64 v[35:36], 3, v[13:14]
	v_lshlrev_b32_e32 v13, 1, v34
	v_mul_hi_u32 v48, 0xf2b9d649, v46
	v_mul_hi_u32 v49, 0xf2b9d649, v47
	v_lshlrev_b64 v[38:39], 3, v[13:14]
	v_add_co_u32 v0, s0, s8, v35
	v_add_co_ci_u32_e64 v31, s0, s9, v36, s0
	v_lshlrev_b32_e32 v13, 1, v32
	v_add_co_u32 v34, s0, 0x1000, v0
	v_add_co_ci_u32_e64 v35, s0, 0, v31, s0
	v_add_co_u32 v0, s0, s8, v38
	v_add_co_ci_u32_e64 v31, s0, s9, v39, s0
	v_lshlrev_b64 v[42:43], 3, v[13:14]
	v_add_co_u32 v38, s0, 0x1000, v0
	v_add_co_ci_u32_e64 v39, s0, 0, v31, s0
	global_load_dwordx4 v[34:37], v[34:35], off offset:144
	v_add_co_u32 v0, s0, s8, v42
	global_load_dwordx4 v[38:41], v[38:39], off offset:144
	v_add_co_ci_u32_e64 v13, s0, s9, v43, s0
	v_add_co_u32 v42, s0, 0x1000, v0
	v_mul_hi_u32 v31, 0xf2b9d649, v32
	v_add_co_ci_u32_e64 v43, s0, 0, v13, s0
	v_mul_lo_u32 v0, s5, v3
	v_mul_lo_u32 v13, s4, v4
	v_mad_u64_u32 v[3:4], null, s4, v3, 0
	global_load_dwordx4 v[42:45], v[42:43], off offset:144
	v_lshrrev_b32_e32 v31, 9, v31
	v_lshrrev_b32_e32 v50, 9, v49
	v_add3_u32 v4, v4, v13, v0
	v_mul_u32_u24_e32 v13, 0x21c, v31
	v_lshrrev_b32_e32 v31, 9, v48
	v_mul_u32_u24_e32 v49, 0x21c, v50
	v_add_nc_u32_e32 v0, 0x1e6, v32
	v_lshlrev_b64 v[3:4], 3, v[3:4]
	v_sub_nc_u32_e32 v13, v32, v13
	v_mul_u32_u24_e32 v48, 0x21c, v31
	v_sub_nc_u32_e32 v53, v47, v49
	v_cmp_gt_u32_e64 s0, 0x21c, v0
	v_add_nc_u32_e32 v63, 0x21c, v13
	v_add_nc_u32_e32 v65, 0x438, v13
	v_sub_nc_u32_e32 v48, v46, v48
	v_add_co_u32 v51, s1, s14, v3
	v_add_co_ci_u32_e64 v52, s1, s15, v4, s1
	v_mad_u64_u32 v[3:4], null, s20, v13, 0
	v_mad_u64_u32 v[46:47], null, s20, v63, 0
	v_mad_u32_u24 v66, 0x654, v31, v48
	v_mad_u64_u32 v[48:49], null, s20, v65, 0
	v_mad_u32_u24 v67, 0x654, v50, v53
	v_add_co_u32 v1, s1, v51, v1
	v_add_co_ci_u32_e64 v2, s1, v52, v2, s1
	v_mad_u64_u32 v[50:51], null, s20, v66, 0
	v_add_nc_u32_e32 v68, 0x21c, v66
	v_mad_u64_u32 v[52:53], null, s20, v67, 0
	v_add_nc_u32_e32 v70, 0x21c, v67
	v_add_nc_u32_e32 v69, 0x438, v66
	;; [unrolled: 1-line block ×3, first 2 shown]
	v_mad_u64_u32 v[54:55], null, s21, v13, v[4:5]
	v_mov_b32_e32 v4, v47
	v_mov_b32_e32 v13, v49
	v_mad_u64_u32 v[55:56], null, s20, v68, 0
	v_mad_u64_u32 v[59:60], null, s20, v70, 0
	v_mad_u64_u32 v[57:58], null, s20, v69, 0
	v_mad_u64_u32 v[61:62], null, s20, v71, 0
	v_mad_u64_u32 v[63:64], null, s21, v63, v[4:5]
	v_mov_b32_e32 v31, v51
	v_mad_u64_u32 v[64:65], null, s21, v65, v[13:14]
	v_mov_b32_e32 v13, v53
	v_mov_b32_e32 v4, v54
	v_mad_u64_u32 v[53:54], null, s21, v66, v[31:32]
	v_mov_b32_e32 v31, v56
	v_mad_u64_u32 v[65:66], null, s21, v67, v[13:14]
	v_mov_b32_e32 v13, v60
	v_mov_b32_e32 v51, v58
	v_mov_b32_e32 v54, v62
	v_mov_b32_e32 v47, v63
	v_mad_u64_u32 v[62:63], null, s21, v68, v[31:32]
	v_mad_u64_u32 v[66:67], null, s21, v70, v[13:14]
	v_lshlrev_b64 v[3:4], 3, v[3:4]
	v_mov_b32_e32 v49, v64
	v_mad_u64_u32 v[63:64], null, s21, v69, v[51:52]
	v_mad_u64_u32 v[67:68], null, s21, v71, v[54:55]
	v_lshlrev_b64 v[46:47], 3, v[46:47]
	v_mov_b32_e32 v51, v53
	v_lshlrev_b64 v[48:49], 3, v[48:49]
	v_add_co_u32 v3, s1, v1, v3
	v_mov_b32_e32 v53, v65
	v_add_co_ci_u32_e64 v4, s1, v2, v4, s1
	v_mov_b32_e32 v56, v62
	v_mov_b32_e32 v58, v63
	;; [unrolled: 1-line block ×4, first 2 shown]
	v_lshlrev_b64 v[50:51], 3, v[50:51]
	v_add_co_u32 v46, s1, v1, v46
	v_add_co_ci_u32_e64 v47, s1, v2, v47, s1
	v_lshlrev_b64 v[52:53], 3, v[52:53]
	v_add_co_u32 v48, s1, v1, v48
	v_lshlrev_b64 v[54:55], 3, v[55:56]
	v_lshlrev_b64 v[56:57], 3, v[57:58]
	;; [unrolled: 1-line block ×4, first 2 shown]
	v_add_co_ci_u32_e64 v49, s1, v2, v49, s1
	v_add_co_u32 v50, s1, v1, v50
	v_add_co_ci_u32_e64 v51, s1, v2, v51, s1
	v_add_co_u32 v52, s1, v1, v52
	;; [unrolled: 2-line block ×6, first 2 shown]
	v_add_co_ci_u32_e64 v61, s1, v2, v61, s1
	s_waitcnt vmcnt(2)
	v_mul_f32_e32 v13, v7, v35
	v_mul_f32_e32 v31, v12, v37
	s_waitcnt lgkmcnt(4)
	v_mul_f32_e32 v35, v15, v35
	s_waitcnt lgkmcnt(3)
	v_mul_f32_e32 v37, v20, v37
	v_fma_f32 v13, v15, v34, -v13
	v_fma_f32 v15, v20, v36, -v31
	v_fmac_f32_e32 v35, v7, v34
	v_fmac_f32_e32 v37, v12, v36
	s_waitcnt vmcnt(1)
	v_mul_f32_e32 v7, v10, v39
	v_mul_f32_e32 v12, v11, v41
	;; [unrolled: 1-line block ×4, first 2 shown]
	v_add_f32_e32 v34, v13, v15
	v_sub_f32_e32 v36, v35, v37
	s_waitcnt lgkmcnt(0)
	v_add_f32_e32 v39, v30, v13
	v_add_f32_e32 v41, v35, v37
	;; [unrolled: 1-line block ×3, first 2 shown]
	v_fma_f32 v7, v18, v38, -v7
	v_fma_f32 v18, v19, v40, -v12
	v_fmac_f32_e32 v20, v10, v38
	v_fmac_f32_e32 v31, v11, v40
	s_waitcnt vmcnt(0)
	v_mul_f32_e32 v19, v9, v43
	v_mul_f32_e32 v38, v8, v45
	;; [unrolled: 1-line block ×4, first 2 shown]
	v_sub_f32_e32 v62, v13, v15
	v_fma_f32 v11, -0.5, v34, v30
	v_add_f32_e32 v13, v39, v15
	v_add_f32_e32 v12, v35, v37
	;; [unrolled: 1-line block ×4, first 2 shown]
	v_fma_f32 v19, v17, v42, -v19
	v_fma_f32 v37, v16, v44, -v38
	v_fmac_f32_e32 v40, v9, v42
	v_fmac_f32_e32 v43, v8, v44
	v_fma_f32 v10, -0.5, v41, v27
	v_add_f32_e32 v27, v29, v7
	v_sub_f32_e32 v34, v20, v31
	v_add_f32_e32 v20, v26, v20
	v_fma_f32 v16, -0.5, v15, v29
	v_fma_f32 v15, -0.5, v30, v26
	v_add_f32_e32 v9, v19, v37
	v_add_f32_e32 v30, v40, v43
	v_sub_f32_e32 v35, v7, v18
	v_fmamk_f32 v8, v36, 0xbf5db3d7, v11
	v_fmac_f32_e32 v11, 0x3f5db3d7, v36
	v_add_f32_e32 v18, v27, v18
	v_add_f32_e32 v27, v28, v19
	;; [unrolled: 1-line block ×4, first 2 shown]
	v_sub_f32_e32 v29, v40, v43
	v_sub_f32_e32 v31, v19, v37
	v_fma_f32 v20, -0.5, v9, v28
	v_fma_f32 v19, -0.5, v30, v25
	v_add_f32_e32 v28, v27, v37
	v_add_f32_e32 v27, v36, v43
	v_fmamk_f32 v26, v34, 0xbf5db3d7, v16
	v_fmamk_f32 v30, v29, 0xbf5db3d7, v20
	v_fmac_f32_e32 v20, 0x3f5db3d7, v29
	v_fmamk_f32 v29, v31, 0x3f5db3d7, v19
	v_fmac_f32_e32 v19, 0xbf5db3d7, v31
	v_fmac_f32_e32 v16, 0x3f5db3d7, v34
	v_fmamk_f32 v25, v35, 0x3f5db3d7, v15
	v_fmac_f32_e32 v15, 0xbf5db3d7, v35
	v_fmamk_f32 v7, v62, 0x3f5db3d7, v10
	v_fmac_f32_e32 v10, 0xbf5db3d7, v62
	global_store_dwordx2 v[3:4], v[27:28], off
	global_store_dwordx2 v[46:47], v[19:20], off
	;; [unrolled: 1-line block ×9, first 2 shown]
	s_and_b32 exec_lo, exec_lo, s0
	s_cbranch_execz .LBB0_44
; %bb.43:
	v_subrev_nc_u32_e32 v3, 54, v32
	v_add_nc_u32_e32 v17, 0x402, v32
	v_add_nc_u32_e32 v18, 0x61e, v32
	v_cndmask_b32_e32 v3, v3, v33, vcc_lo
	v_mad_u64_u32 v[11:12], null, s20, v17, 0
	v_lshlrev_b32_e32 v13, 1, v3
	v_lshlrev_b64 v[3:4], 3, v[13:14]
	v_mad_u64_u32 v[13:14], null, s20, v18, 0
	v_add_co_u32 v3, vcc_lo, s8, v3
	v_add_co_ci_u32_e32 v4, vcc_lo, s9, v4, vcc_lo
	v_add_co_u32 v3, vcc_lo, 0x1000, v3
	v_add_co_ci_u32_e32 v4, vcc_lo, 0, v4, vcc_lo
	global_load_dwordx4 v[7:10], v[3:4], off offset:144
	v_mad_u64_u32 v[3:4], null, s20, v0, 0
	v_mad_u64_u32 v[15:16], null, s21, v0, v[4:5]
	;; [unrolled: 1-line block ×4, first 2 shown]
	v_mov_b32_e32 v4, v15
	v_mov_b32_e32 v12, v16
	v_lshlrev_b64 v[3:4], 3, v[3:4]
	v_mov_b32_e32 v14, v17
	v_lshlrev_b64 v[11:12], 3, v[11:12]
	v_add_co_u32 v3, vcc_lo, v1, v3
	v_lshlrev_b64 v[13:14], 3, v[13:14]
	v_add_co_ci_u32_e32 v4, vcc_lo, v2, v4, vcc_lo
	s_waitcnt vmcnt(0)
	v_mul_f32_e32 v15, v23, v8
	v_mul_f32_e32 v0, v21, v8
	;; [unrolled: 1-line block ×4, first 2 shown]
	v_add_co_u32 v10, vcc_lo, v1, v11
	v_fmac_f32_e32 v15, v21, v7
	v_fma_f32 v7, v23, v7, -v0
	v_fmac_f32_e32 v8, v22, v9
	v_fma_f32 v9, v24, v9, -v16
	v_add_co_ci_u32_e32 v11, vcc_lo, v2, v12, vcc_lo
	v_add_co_u32 v0, vcc_lo, v1, v13
	v_add_co_ci_u32_e32 v1, vcc_lo, v2, v14, vcc_lo
	v_add_f32_e32 v2, v15, v8
	v_add_f32_e32 v13, v7, v9
	;; [unrolled: 1-line block ×4, first 2 shown]
	v_sub_f32_e32 v14, v7, v9
	v_fmac_f32_e32 v5, -0.5, v2
	v_sub_f32_e32 v2, v15, v8
	v_fmac_f32_e32 v6, -0.5, v13
	v_add_f32_e32 v7, v12, v8
	v_add_f32_e32 v8, v16, v9
	v_fmamk_f32 v12, v14, 0xbf5db3d7, v5
	v_fmac_f32_e32 v5, 0x3f5db3d7, v14
	v_fmamk_f32 v13, v2, 0x3f5db3d7, v6
	v_fmac_f32_e32 v6, 0xbf5db3d7, v2
	global_store_dwordx2 v[3:4], v[7:8], off
	global_store_dwordx2 v[10:11], v[12:13], off
	;; [unrolled: 1-line block ×3, first 2 shown]
.LBB0_44:
	s_endpgm
	.section	.rodata,"a",@progbits
	.p2align	6, 0x0
	.amdhsa_kernel fft_rtc_back_len1620_factors_10_3_3_6_3_wgs_162_tpt_162_halfLds_sp_op_CI_CI_sbrr_dirReg
		.amdhsa_group_segment_fixed_size 0
		.amdhsa_private_segment_fixed_size 0
		.amdhsa_kernarg_size 104
		.amdhsa_user_sgpr_count 6
		.amdhsa_user_sgpr_private_segment_buffer 1
		.amdhsa_user_sgpr_dispatch_ptr 0
		.amdhsa_user_sgpr_queue_ptr 0
		.amdhsa_user_sgpr_kernarg_segment_ptr 1
		.amdhsa_user_sgpr_dispatch_id 0
		.amdhsa_user_sgpr_flat_scratch_init 0
		.amdhsa_user_sgpr_private_segment_size 0
		.amdhsa_wavefront_size32 1
		.amdhsa_uses_dynamic_stack 0
		.amdhsa_system_sgpr_private_segment_wavefront_offset 0
		.amdhsa_system_sgpr_workgroup_id_x 1
		.amdhsa_system_sgpr_workgroup_id_y 0
		.amdhsa_system_sgpr_workgroup_id_z 0
		.amdhsa_system_sgpr_workgroup_info 0
		.amdhsa_system_vgpr_workitem_id 0
		.amdhsa_next_free_vgpr 72
		.amdhsa_next_free_sgpr 31
		.amdhsa_reserve_vcc 1
		.amdhsa_reserve_flat_scratch 0
		.amdhsa_float_round_mode_32 0
		.amdhsa_float_round_mode_16_64 0
		.amdhsa_float_denorm_mode_32 3
		.amdhsa_float_denorm_mode_16_64 3
		.amdhsa_dx10_clamp 1
		.amdhsa_ieee_mode 1
		.amdhsa_fp16_overflow 0
		.amdhsa_workgroup_processor_mode 1
		.amdhsa_memory_ordered 1
		.amdhsa_forward_progress 0
		.amdhsa_shared_vgpr_count 0
		.amdhsa_exception_fp_ieee_invalid_op 0
		.amdhsa_exception_fp_denorm_src 0
		.amdhsa_exception_fp_ieee_div_zero 0
		.amdhsa_exception_fp_ieee_overflow 0
		.amdhsa_exception_fp_ieee_underflow 0
		.amdhsa_exception_fp_ieee_inexact 0
		.amdhsa_exception_int_div_zero 0
	.end_amdhsa_kernel
	.text
.Lfunc_end0:
	.size	fft_rtc_back_len1620_factors_10_3_3_6_3_wgs_162_tpt_162_halfLds_sp_op_CI_CI_sbrr_dirReg, .Lfunc_end0-fft_rtc_back_len1620_factors_10_3_3_6_3_wgs_162_tpt_162_halfLds_sp_op_CI_CI_sbrr_dirReg
                                        ; -- End function
	.section	.AMDGPU.csdata,"",@progbits
; Kernel info:
; codeLenInByte = 8744
; NumSgprs: 33
; NumVgprs: 72
; ScratchSize: 0
; MemoryBound: 0
; FloatMode: 240
; IeeeMode: 1
; LDSByteSize: 0 bytes/workgroup (compile time only)
; SGPRBlocks: 4
; VGPRBlocks: 8
; NumSGPRsForWavesPerEU: 33
; NumVGPRsForWavesPerEU: 72
; Occupancy: 12
; WaveLimiterHint : 1
; COMPUTE_PGM_RSRC2:SCRATCH_EN: 0
; COMPUTE_PGM_RSRC2:USER_SGPR: 6
; COMPUTE_PGM_RSRC2:TRAP_HANDLER: 0
; COMPUTE_PGM_RSRC2:TGID_X_EN: 1
; COMPUTE_PGM_RSRC2:TGID_Y_EN: 0
; COMPUTE_PGM_RSRC2:TGID_Z_EN: 0
; COMPUTE_PGM_RSRC2:TIDIG_COMP_CNT: 0
	.text
	.p2alignl 6, 3214868480
	.fill 48, 4, 3214868480
	.type	__hip_cuid_33a32348776f2dda,@object ; @__hip_cuid_33a32348776f2dda
	.section	.bss,"aw",@nobits
	.globl	__hip_cuid_33a32348776f2dda
__hip_cuid_33a32348776f2dda:
	.byte	0                               ; 0x0
	.size	__hip_cuid_33a32348776f2dda, 1

	.ident	"AMD clang version 19.0.0git (https://github.com/RadeonOpenCompute/llvm-project roc-6.4.0 25133 c7fe45cf4b819c5991fe208aaa96edf142730f1d)"
	.section	".note.GNU-stack","",@progbits
	.addrsig
	.addrsig_sym __hip_cuid_33a32348776f2dda
	.amdgpu_metadata
---
amdhsa.kernels:
  - .args:
      - .actual_access:  read_only
        .address_space:  global
        .offset:         0
        .size:           8
        .value_kind:     global_buffer
      - .offset:         8
        .size:           8
        .value_kind:     by_value
      - .actual_access:  read_only
        .address_space:  global
        .offset:         16
        .size:           8
        .value_kind:     global_buffer
      - .actual_access:  read_only
        .address_space:  global
        .offset:         24
        .size:           8
        .value_kind:     global_buffer
      - .actual_access:  read_only
        .address_space:  global
        .offset:         32
        .size:           8
        .value_kind:     global_buffer
      - .offset:         40
        .size:           8
        .value_kind:     by_value
      - .actual_access:  read_only
        .address_space:  global
        .offset:         48
        .size:           8
        .value_kind:     global_buffer
      - .actual_access:  read_only
        .address_space:  global
        .offset:         56
        .size:           8
        .value_kind:     global_buffer
      - .offset:         64
        .size:           4
        .value_kind:     by_value
      - .actual_access:  read_only
        .address_space:  global
        .offset:         72
        .size:           8
        .value_kind:     global_buffer
      - .actual_access:  read_only
        .address_space:  global
        .offset:         80
        .size:           8
        .value_kind:     global_buffer
      - .actual_access:  read_only
        .address_space:  global
        .offset:         88
        .size:           8
        .value_kind:     global_buffer
      - .actual_access:  write_only
        .address_space:  global
        .offset:         96
        .size:           8
        .value_kind:     global_buffer
    .group_segment_fixed_size: 0
    .kernarg_segment_align: 8
    .kernarg_segment_size: 104
    .language:       OpenCL C
    .language_version:
      - 2
      - 0
    .max_flat_workgroup_size: 162
    .name:           fft_rtc_back_len1620_factors_10_3_3_6_3_wgs_162_tpt_162_halfLds_sp_op_CI_CI_sbrr_dirReg
    .private_segment_fixed_size: 0
    .sgpr_count:     33
    .sgpr_spill_count: 0
    .symbol:         fft_rtc_back_len1620_factors_10_3_3_6_3_wgs_162_tpt_162_halfLds_sp_op_CI_CI_sbrr_dirReg.kd
    .uniform_work_group_size: 1
    .uses_dynamic_stack: false
    .vgpr_count:     72
    .vgpr_spill_count: 0
    .wavefront_size: 32
    .workgroup_processor_mode: 1
amdhsa.target:   amdgcn-amd-amdhsa--gfx1030
amdhsa.version:
  - 1
  - 2
...

	.end_amdgpu_metadata
